;; amdgpu-corpus repo=ROCm/rocFFT kind=compiled arch=gfx950 opt=O3
	.text
	.amdgcn_target "amdgcn-amd-amdhsa--gfx950"
	.amdhsa_code_object_version 6
	.protected	bluestein_single_fwd_len35_dim1_sp_op_CI_CI ; -- Begin function bluestein_single_fwd_len35_dim1_sp_op_CI_CI
	.globl	bluestein_single_fwd_len35_dim1_sp_op_CI_CI
	.p2align	8
	.type	bluestein_single_fwd_len35_dim1_sp_op_CI_CI,@function
bluestein_single_fwd_len35_dim1_sp_op_CI_CI: ; @bluestein_single_fwd_len35_dim1_sp_op_CI_CI
; %bb.0:
	s_load_dwordx4 s[16:19], s[0:1], 0x28
	v_mul_u32_u24_e32 v1, 0x2493, v0
	v_lshrrev_b32_e32 v2, 16, v1
	v_mad_u64_u32 v[24:25], s[2:3], s2, 36, v[2:3]
	v_mov_b32_e32 v21, 0
	v_mov_b32_e32 v25, v21
	s_waitcnt lgkmcnt(0)
	v_cmp_gt_u64_e32 vcc, s[16:17], v[24:25]
	s_and_saveexec_b64 s[2:3], vcc
	s_cbranch_execz .LBB0_12
; %bb.1:
	s_load_dwordx4 s[4:7], s[0:1], 0x18
	s_load_dwordx4 s[8:11], s[0:1], 0x0
	v_mul_lo_u16_e32 v1, 7, v2
	v_sub_u16_e32 v25, v0, v1
	v_mov_b32_e32 v4, s18
	s_waitcnt lgkmcnt(0)
	s_load_dwordx4 s[12:15], s[4:5], 0x0
	v_mov_b32_e32 v5, s19
	v_lshlrev_b32_e32 v20, 3, v25
	global_load_dwordx2 v[34:35], v20, s[8:9]
	v_cmp_gt_u16_e32 vcc, 5, v25
	s_waitcnt lgkmcnt(0)
	v_mad_u64_u32 v[0:1], s[2:3], s14, v24, 0
	v_mov_b32_e32 v2, v1
	v_mad_u64_u32 v[2:3], s[2:3], s15, v24, v[2:3]
	v_mov_b32_e32 v1, v2
	;; [unrolled: 2-line block ×4, first 2 shown]
	v_lshl_add_u64 v[0:1], v[0:1], 3, v[4:5]
	v_lshl_add_u64 v[0:1], v[2:3], 3, v[0:1]
	global_load_dwordx2 v[2:3], v[0:1], off
	v_mad_u64_u32 v[0:1], s[2:3], s12, 56, v[0:1]
	s_mul_i32 s4, s13, 56
	v_add_u32_e32 v1, s4, v1
	global_load_dwordx2 v[4:5], v[0:1], off
	global_load_dwordx2 v[32:33], v20, s[8:9] offset:56
	v_mad_u64_u32 v[0:1], s[2:3], s12, 56, v[0:1]
	v_add_u32_e32 v1, s4, v1
	global_load_dwordx2 v[6:7], v[0:1], off
	global_load_dwordx2 v[30:31], v20, s[8:9] offset:112
	v_mad_u64_u32 v[0:1], s[2:3], s12, 56, v[0:1]
	v_add_u32_e32 v1, s4, v1
	global_load_dwordx2 v[28:29], v20, s[8:9] offset:168
	global_load_dwordx2 v[8:9], v[0:1], off
	v_mad_u64_u32 v[0:1], s[2:3], s12, 56, v[0:1]
	v_add_u32_e32 v1, s4, v1
	global_load_dwordx2 v[26:27], v20, s[8:9] offset:224
	global_load_dwordx2 v[10:11], v[0:1], off
	s_load_dwordx2 s[2:3], s[0:1], 0x38
	s_mov_b32 s1, 0x38e38e39
	v_mul_hi_u32 v0, v24, s1
	v_lshrrev_b32_e32 v0, 3, v0
	v_mul_lo_u32 v0, v0, 36
	v_sub_u32_e32 v0, v24, v0
	v_mul_u32_u24_e32 v0, 35, v0
	v_lshlrev_b32_e32 v61, 3, v0
	v_add_u32_e32 v60, v20, v61
	s_load_dwordx4 s[4:7], s[6:7], 0x0
	s_mov_b32 s12, 0x3f737871
	s_mov_b32 s13, 0x3f167918
	;; [unrolled: 1-line block ×4, first 2 shown]
	s_waitcnt vmcnt(8)
	v_mul_f32_e32 v0, v3, v35
	v_mul_f32_e32 v1, v2, v35
	v_fmac_f32_e32 v0, v2, v34
	v_fma_f32 v1, v3, v34, -v1
	s_waitcnt vmcnt(6)
	v_mul_f32_e32 v2, v5, v33
	v_mul_f32_e32 v3, v4, v33
	v_fmac_f32_e32 v2, v4, v32
	v_fma_f32 v3, v5, v32, -v3
	ds_write2_b64 v60, v[0:1], v[2:3] offset1:7
	s_waitcnt vmcnt(4)
	v_mul_f32_e32 v0, v7, v31
	v_mul_f32_e32 v1, v6, v31
	v_fmac_f32_e32 v0, v6, v30
	s_waitcnt vmcnt(2)
	v_mul_f32_e32 v2, v9, v29
	v_mul_f32_e32 v3, v8, v29
	v_fma_f32 v1, v7, v30, -v1
	v_fmac_f32_e32 v2, v8, v28
	v_fma_f32 v3, v9, v28, -v3
	ds_write2_b64 v60, v[0:1], v[2:3] offset0:14 offset1:21
	s_waitcnt vmcnt(0)
	v_mul_f32_e32 v0, v11, v27
	v_mul_f32_e32 v1, v10, v27
	v_fmac_f32_e32 v0, v10, v26
	v_fma_f32 v1, v11, v26, -v1
	ds_write_b64 v60, v[0:1] offset:224
	s_waitcnt lgkmcnt(0)
	s_barrier
	ds_read2_b64 v[0:3], v60 offset0:14 offset1:21
	ds_read2_b64 v[4:7], v60 offset1:7
	ds_read_b64 v[8:9], v60 offset:224
	s_waitcnt lgkmcnt(0)
	s_barrier
	v_mov_b32_e32 v14, v0
	v_mov_b32_e32 v12, v6
	;; [unrolled: 1-line block ×4, first 2 shown]
	v_pk_add_f32 v[10:11], v[0:1], v[2:3]
	v_pk_add_f32 v[16:17], v[4:5], v[6:7]
	v_mov_b32_e32 v18, v7
	v_mov_b32_e32 v19, v9
	;; [unrolled: 1-line block ×4, first 2 shown]
	v_pk_add_f32 v[36:37], v[6:7], v[8:9] neg_lo:[0,1] neg_hi:[0,1]
	v_pk_add_f32 v[38:39], v[0:1], v[2:3] neg_lo:[0,1] neg_hi:[0,1]
	;; [unrolled: 1-line block ×3, first 2 shown]
	v_fma_f32 v40, -0.5, v10, v4
	v_pk_add_f32 v[14:15], v[16:17], v[0:1]
	v_fma_f32 v42, -0.5, v11, v5
	v_pk_add_f32 v[10:11], v[18:19], v[22:23] neg_lo:[0,1] neg_hi:[0,1]
	v_mov_b32_e32 v16, v37
	v_mov_b32_e32 v17, v39
	v_add_f32_e32 v18, v12, v13
	v_pk_add_f32 v[12:13], v[14:15], v[2:3]
	v_add_f32_e32 v15, v10, v11
	v_pk_mul_f32 v[10:11], v[16:17], s[12:13]
	v_mul_f32_e32 v14, 0x3e9e377a, v18
	v_pk_add_f32 v[18:19], v[6:7], v[8:9]
	v_mul_f32_e32 v16, 0x3e9e377a, v15
	v_add_f32_e32 v15, v40, v10
	v_sub_f32_e32 v17, v40, v10
	v_pk_fma_f32 v[4:5], -0.5, v[18:19], v[4:5] op_sel_hi:[0,1,1]
	v_pk_mul_f32 v[18:19], v[38:39], s[12:13] op_sel_hi:[1,0]
	v_pk_mul_f32 v[40:41], v[36:37], s[14:15] op_sel_hi:[1,0]
	v_pk_add_f32 v[0:1], v[0:1], v[6:7] neg_lo:[0,1] neg_hi:[0,1]
	v_pk_add_f32 v[2:3], v[2:3], v[8:9] neg_lo:[0,1] neg_hi:[0,1]
	v_mov_b32_e32 v39, v36
	s_mov_b32 s15, s12
	v_pk_add_f32 v[0:1], v[0:1], v[2:3]
	v_pk_mul_f32 v[2:3], v[38:39], s[14:15]
	v_add_f32_e32 v10, v11, v15
	v_sub_f32_e32 v6, v42, v3
	v_add_f32_e32 v3, v3, v42
	v_sub_f32_e32 v6, v6, v2
	v_add_f32_e32 v7, v2, v3
	v_pk_add_f32 v[2:3], v[4:5], v[18:19] op_sel:[0,1] op_sel_hi:[1,0] neg_lo:[0,1] neg_hi:[0,1]
	v_pk_add_f32 v[4:5], v[4:5], v[18:19] op_sel:[0,1] op_sel_hi:[1,0]
	v_sub_f32_e32 v11, v17, v11
	v_pk_add_f32 v[4:5], v[4:5], v[40:41] op_sel:[0,1] op_sel_hi:[1,0] neg_lo:[0,1] neg_hi:[0,1]
	v_pk_add_f32 v[2:3], v[2:3], v[40:41] op_sel:[0,1] op_sel_hi:[1,0]
	v_pk_add_f32 v[22:23], v[14:15], v[10:11] op_sel_hi:[0,1]
	v_pk_add_f32 v[16:17], v[16:17], v[6:7] op_sel_hi:[0,1]
	v_mov_b32_e32 v6, v2
	v_mov_b32_e32 v7, v5
	v_mul_lo_u16_e32 v2, 5, v25
	v_mov_b32_e32 v5, v3
	v_pk_add_f32 v[12:13], v[12:13], v[8:9]
	v_pk_fma_f32 v[36:37], v[0:1], s[0:1], v[6:7] op_sel_hi:[1,0,1]
	v_lshl_add_u32 v62, v2, 3, v61
	v_mov_b32_e32 v6, v22
	v_mov_b32_e32 v7, v16
	v_pk_fma_f32 v[14:15], v[0:1], s[0:1], v[4:5] op_sel_hi:[1,0,1]
	v_mov_b32_e32 v0, v23
	v_mov_b32_e32 v1, v17
	v_cmp_lt_u16_e64 s[0:1], 4, v25
	ds_write2_b64 v62, v[12:13], v[6:7] offset1:1
	ds_write2_b64 v62, v[36:37], v[14:15] offset0:2 offset1:3
	ds_write_b64 v62, v[0:1] offset:32
	s_waitcnt lgkmcnt(0)
	s_barrier
	s_waitcnt lgkmcnt(0)
                                        ; implicit-def: $vgpr41
	s_and_saveexec_b64 s[12:13], s[0:1]
	s_xor_b64 s[12:13], exec, s[12:13]
; %bb.2:
	v_mov_b32_e32 v41, v14
; %bb.3:
	s_or_saveexec_b64 s[12:13], s[12:13]
                                        ; implicit-def: $vgpr42
	s_xor_b64 exec, exec, s[12:13]
	s_cbranch_execz .LBB0_5
; %bb.4:
	ds_read2_b64 v[12:15], v60 offset1:5
	ds_read2_b64 v[16:19], v60 offset0:20 offset1:25
	ds_read_b64 v[40:41], v60 offset:240
	ds_read2_b64 v[0:3], v60 offset0:10 offset1:15
	s_waitcnt lgkmcnt(3)
	v_mov_b32_e32 v22, v14
	s_waitcnt lgkmcnt(2)
	v_mov_b32_e32 v23, v16
	v_mov_b32_e32 v16, v15
	s_waitcnt lgkmcnt(1)
	v_mov_b32_e32 v14, v41
	s_waitcnt lgkmcnt(0)
	v_mov_b32_e32 v15, v3
	v_mov_b64_e32 v[36:37], v[0:1]
	v_mov_b32_e32 v41, v2
	v_mov_b32_e32 v42, v19
.LBB0_5:
	s_or_b64 exec, exec, s[12:13]
	v_add_u32_e32 v0, -5, v25
	v_cndmask_b32_e32 v0, v0, v25, vcc
	v_mul_hi_i32_i24_e32 v1, 6, v0
	v_mul_i32_i24_e32 v0, 6, v0
	v_lshl_add_u64 v[38:39], v[0:1], 3, s[10:11]
	global_load_dwordx4 v[0:3], v[38:39], off
	global_load_dwordx4 v[8:11], v[38:39], off offset:16
	global_load_dwordx4 v[4:7], v[38:39], off offset:32
	v_mov_b32_e32 v46, v22
	v_mov_b32_e32 v47, v41
	;; [unrolled: 1-line block ×4, first 2 shown]
	v_lshl_add_u64 v[38:39], s[8:9], 0, v[20:21]
	s_mov_b32 s12, 0x3eae86e6
	s_mov_b32 s13, 0xbf08b237
	;; [unrolled: 1-line block ×7, first 2 shown]
	s_waitcnt vmcnt(2)
	v_mov_b32_e32 v54, v1
	s_waitcnt vmcnt(1)
	v_mov_b32_e32 v55, v9
	;; [unrolled: 2-line block ×3, first 2 shown]
	v_mov_b32_e32 v59, v9
	v_mov_b32_e32 v52, v0
	;; [unrolled: 1-line block ×5, first 2 shown]
	v_pk_mul_f32 v[42:43], v[42:43], v[4:5] op_sel_hi:[0,1]
	v_pk_mul_f32 v[46:47], v[46:47], v[54:55]
	v_pk_mul_f32 v[54:55], v[14:15], v[58:59]
	v_mov_b32_e32 v50, v1
	v_mov_b32_e32 v51, v11
	;; [unrolled: 1-line block ×4, first 2 shown]
	v_pk_mul_f32 v[68:69], v[36:37], v[2:3] op_sel:[1,0]
	v_pk_fma_f32 v[58:59], v[18:19], v[4:5], v[42:43] op_sel:[0,0,1] op_sel_hi:[1,1,0] neg_lo:[0,0,1] neg_hi:[0,0,1]
	v_pk_fma_f32 v[18:19], v[18:19], v[4:5], v[42:43] op_sel:[0,0,1] op_sel_hi:[0,1,0]
	v_pk_fma_f32 v[44:45], v[44:45], v[52:53], v[46:47]
	v_pk_fma_f32 v[46:47], v[40:41], v[56:57], v[54:55] neg_lo:[0,0,1] neg_hi:[0,0,1]
	v_mov_b32_e32 v41, v23
	v_mov_b32_e32 v48, v0
	;; [unrolled: 1-line block ×5, first 2 shown]
	v_pk_mul_f32 v[50:51], v[16:17], v[50:51]
	v_mov_b32_e32 v15, v17
	v_pk_fma_f32 v[16:17], v[36:37], v[2:3], v[68:69] op_sel:[0,0,1] op_sel_hi:[1,1,0] neg_lo:[0,0,1] neg_hi:[0,0,1]
	v_pk_fma_f32 v[36:37], v[36:37], v[2:3], v[68:69] op_sel:[0,0,1] op_sel_hi:[0,1,0]
	v_mov_b32_e32 v59, v19
	v_pk_mul_f32 v[18:19], v[40:41], v[66:67]
	v_pk_fma_f32 v[42:43], v[22:23], v[48:49], v[50:51] neg_lo:[0,0,1] neg_hi:[0,0,1]
	v_mov_b32_e32 v17, v37
	v_pk_fma_f32 v[14:15], v[14:15], v[64:65], v[18:19]
	v_pk_add_f32 v[22:23], v[42:43], v[46:47] neg_lo:[0,1] neg_hi:[0,1]
	v_pk_add_f32 v[36:37], v[46:47], v[42:43]
	v_mov_b32_e32 v40, v44
	v_pk_add_f32 v[48:49], v[16:17], v[58:59]
	v_pk_add_f32 v[50:51], v[44:45], v[14:15]
	v_mov_b32_e32 v41, v15
	v_mov_b32_e32 v15, v45
	v_pk_add_f32 v[46:47], v[16:17], v[58:59] neg_lo:[0,1] neg_hi:[0,1]
	v_mov_b32_e32 v18, v49
	v_mov_b32_e32 v19, v22
	v_pk_add_f32 v[42:43], v[48:49], v[36:37]
	v_pk_add_f32 v[14:15], v[40:41], v[14:15] neg_lo:[0,1] neg_hi:[0,1]
	v_mov_b32_e32 v41, v50
	v_mov_b32_e32 v16, v23
	;; [unrolled: 1-line block ×4, first 2 shown]
	v_pk_add_f32 v[42:43], v[18:19], v[50:51] neg_lo:[0,1] neg_hi:[0,1]
	v_pk_add_f32 v[40:41], v[48:49], v[40:41]
	v_mov_b32_e32 v18, v14
	v_pk_add_f32 v[44:45], v[22:23], v[16:17] neg_lo:[0,1] neg_hi:[0,1]
	v_mov_b32_e32 v22, v15
	v_pk_add_f32 v[56:57], v[40:41], v[50:51]
	v_pk_add_f32 v[40:41], v[46:47], v[18:19] op_sel:[1,0] op_sel_hi:[0,1] neg_lo:[0,1] neg_hi:[0,1]
	v_sub_f32_e32 v53, v50, v51
	v_pk_mul_f32 v[16:17], v[44:45], s[12:13]
	v_mov_b32_e32 v50, v37
	v_pk_add_f32 v[58:59], v[22:23], v[46:47] op_sel:[0,1] op_sel_hi:[1,0]
	v_pk_mul_f32 v[22:23], v[40:41], s[16:17] op_sel_hi:[1,0]
	v_mov_b32_e32 v55, v16
	v_pk_add_f32 v[50:51], v[50:51], v[48:49] neg_lo:[0,1] neg_hi:[0,1]
	v_xor_b32_e32 v54, 0x80000000, v23
	v_pk_add_f32 v[40:41], v[58:59], v[18:19]
	v_pk_mul_f32 v[18:19], v[50:51], s[14:15] op_sel_hi:[1,0]
	v_pk_fma_f32 v[50:51], v[44:45], s[12:13], v[54:55] neg_lo:[1,0,0] neg_hi:[1,0,0]
	v_pk_fma_f32 v[44:45], v[44:45], s[12:13], v[54:55]
	v_pk_mul_f32 v[40:41], v[40:41], s[18:19] op_sel_hi:[1,0]
	v_mov_b32_e32 v51, v45
	v_sub_f32_e32 v63, v36, v37
	v_pk_add_f32 v[44:45], v[40:41], v[50:51] op_sel:[1,0]
	v_pk_add_f32 v[50:51], v[48:49], v[36:37] neg_lo:[0,1] neg_hi:[0,1]
	v_pk_add_f32 v[36:37], v[20:21], v[36:37]
	v_mov_b32_e32 v46, v15
	v_mov_b32_e32 v56, v37
	v_pk_add_f32 v[54:55], v[12:13], v[56:57]
	v_mul_f32_e32 v52, 0xbf4a47b2, v53
	v_mov_b32_e32 v43, v57
	v_pk_add_f32 v[14:15], v[14:15], v[46:47] neg_lo:[0,1] neg_hi:[0,1]
	v_fmamk_f32 v47, v53, 0x3f4a47b2, v19
	v_mov_b32_e32 v53, v55
	v_pk_fma_f32 v[12:13], v[42:43], s[10:11], v[52:53] neg_lo:[1,0,0] neg_hi:[1,0,0]
	v_pk_mul_f32 v[48:49], v[14:15], s[12:13]
	v_mov_b32_e32 v46, v13
	v_mov_b32_e32 v51, v37
	v_pk_add_f32 v[52:53], v[12:13], v[46:47]
	v_mul_f32_e32 v46, 0xbf4a47b2, v63
	v_mov_b32_e32 v47, v54
	v_mov_b32_e32 v21, v48
	v_pk_fma_f32 v[46:47], v[50:51], s[10:11], v[46:47] neg_lo:[1,0,0] neg_hi:[1,0,0]
	v_pk_fma_f32 v[58:59], v[14:15], s[12:13], v[22:23] neg_lo:[1,0,1] neg_hi:[1,0,1]
	v_pk_fma_f32 v[14:15], v[14:15], s[12:13], v[20:21]
	v_fmamk_f32 v37, v63, 0x3f4a47b2, v18
	v_mov_b32_e32 v59, v15
	v_mov_b32_e32 v36, v47
	v_pk_add_f32 v[56:57], v[46:47], v[36:37]
	v_pk_add_f32 v[58:59], v[40:41], v[58:59] op_sel_hi:[0,1]
	v_pk_add_f32 v[14:15], v[56:57], v[58:59] neg_lo:[0,1] neg_hi:[0,1]
	v_pk_add_f32 v[36:37], v[44:45], v[52:53]
	s_and_saveexec_b64 s[12:13], vcc
	s_cbranch_execz .LBB0_7
; %bb.6:
	v_pk_mul_f32 v[42:43], v[42:43], s[10:11]
	v_pk_mul_f32 v[50:51], v[50:51], s[10:11]
	v_mov_b32_e32 v12, v59
	v_mov_b32_e32 v16, v57
	ds_write_b64 v60, v[54:55]
	v_pk_add_f32 v[54:55], v[12:13], v[16:17]
	v_mov_b32_e32 v16, v49
	v_mov_b32_e32 v51, v42
	v_pk_add_f32 v[16:17], v[22:23], v[16:17] neg_lo:[0,1] neg_hi:[0,1]
	v_pk_add_f32 v[18:19], v[50:51], v[18:19] neg_lo:[0,1] neg_hi:[0,1]
	v_mov_b32_e32 v12, v47
	v_pk_add_f32 v[16:17], v[40:41], v[16:17]
	v_pk_add_f32 v[12:13], v[18:19], v[12:13]
	v_pk_add_f32 v[64:65], v[52:53], v[44:45] neg_lo:[0,1] neg_hi:[0,1]
	v_mov_b32_e32 v21, v52
	v_mov_b32_e32 v52, v56
	;; [unrolled: 1-line block ×3, first 2 shown]
	v_pk_add_f32 v[18:19], v[12:13], v[16:17] neg_lo:[0,1] neg_hi:[0,1]
	v_pk_add_f32 v[12:13], v[12:13], v[16:17]
	v_lshl_add_u32 v43, v25, 3, v61
	v_pk_add_f32 v[44:45], v[58:59], v[56:57]
	v_pk_add_f32 v[52:53], v[20:21], v[52:53] neg_lo:[0,1] neg_hi:[0,1]
	v_mov_b32_e32 v16, v18
	v_mov_b32_e32 v17, v13
	;; [unrolled: 1-line block ×5, first 2 shown]
	ds_write2_b64 v43, v[16:17], v[12:13] offset0:15 offset1:20
	v_mov_b32_e32 v12, v14
	v_mov_b32_e32 v13, v36
	;; [unrolled: 1-line block ×4, first 2 shown]
	ds_write2_b64 v43, v[54:55], v[44:45] offset0:5 offset1:10
	ds_write2_b64 v43, v[12:13], v[16:17] offset0:25 offset1:30
.LBB0_7:
	s_or_b64 exec, exec, s[12:13]
	s_waitcnt lgkmcnt(0)
	s_barrier
	global_load_dwordx2 v[12:13], v[38:39], off offset:280
	s_add_u32 s8, s8, 0x118
	s_addc_u32 s9, s9, 0
	global_load_dwordx2 v[38:39], v20, s[8:9] offset:56
	global_load_dwordx2 v[40:41], v20, s[8:9] offset:224
	;; [unrolled: 1-line block ×4, first 2 shown]
	ds_read2_b64 v[16:19], v60 offset1:7
	ds_read_b64 v[46:47], v60 offset:224
	s_mov_b32 s10, 0x3f737871
	s_mov_b32 s12, 0x3f167918
	;; [unrolled: 1-line block ×3, first 2 shown]
	s_waitcnt vmcnt(4) lgkmcnt(1)
	v_mul_f32_e32 v20, v17, v13
	v_mul_f32_e32 v21, v16, v13
	v_fma_f32 v20, v16, v12, -v20
	v_fmac_f32_e32 v21, v17, v12
	ds_write_b64 v60, v[20:21]
	ds_read2_b64 v[20:23], v60 offset0:14 offset1:21
	s_waitcnt vmcnt(3)
	v_mul_f32_e32 v12, v19, v39
	v_mul_f32_e32 v13, v18, v39
	s_waitcnt vmcnt(2) lgkmcnt(2)
	v_mul_f32_e32 v16, v47, v41
	v_mul_f32_e32 v17, v46, v41
	v_fma_f32 v12, v18, v38, -v12
	v_fmac_f32_e32 v13, v19, v38
	s_waitcnt vmcnt(1) lgkmcnt(0)
	v_mul_f32_e32 v18, v21, v43
	v_mul_f32_e32 v19, v20, v43
	v_fma_f32 v16, v46, v40, -v16
	v_fmac_f32_e32 v17, v47, v40
	s_waitcnt vmcnt(0)
	v_mul_f32_e32 v38, v23, v45
	v_mul_f32_e32 v39, v22, v45
	v_fma_f32 v18, v20, v42, -v18
	v_fmac_f32_e32 v19, v21, v42
	v_fma_f32 v38, v22, v44, -v38
	v_fmac_f32_e32 v39, v23, v44
	ds_write2_b64 v60, v[12:13], v[18:19] offset0:7 offset1:14
	ds_write2_b64 v60, v[38:39], v[16:17] offset0:21 offset1:28
	s_waitcnt lgkmcnt(0)
	s_barrier
	ds_read2_b64 v[16:19], v60 offset1:7
	ds_read2_b64 v[20:23], v60 offset0:14 offset1:21
	ds_read_b64 v[12:13], v60 offset:224
	s_waitcnt lgkmcnt(0)
	s_barrier
	v_pk_add_f32 v[38:39], v[16:17], v[18:19]
	v_pk_add_f32 v[40:41], v[20:21], v[22:23]
	v_pk_add_f32 v[42:43], v[18:19], v[12:13] neg_lo:[0,1] neg_hi:[0,1]
	v_pk_add_f32 v[44:45], v[20:21], v[22:23] neg_lo:[0,1] neg_hi:[0,1]
	v_pk_add_f32 v[50:51], v[18:19], v[12:13]
	v_pk_add_f32 v[46:47], v[18:19], v[20:21] neg_lo:[0,1] neg_hi:[0,1]
	v_pk_add_f32 v[48:49], v[12:13], v[22:23] neg_lo:[0,1] neg_hi:[0,1]
	;; [unrolled: 1-line block ×4, first 2 shown]
	v_pk_add_f32 v[20:21], v[38:39], v[20:21]
	v_pk_fma_f32 v[38:39], v[40:41], 0.5, v[16:17] op_sel_hi:[1,0,1] neg_lo:[1,0,0] neg_hi:[1,0,0]
	v_pk_mul_f32 v[40:41], v[42:43], s[10:11] op_sel_hi:[1,0]
	v_pk_mul_f32 v[54:55], v[44:45], s[12:13] op_sel_hi:[1,0]
	v_pk_fma_f32 v[16:17], v[50:51], 0.5, v[16:17] op_sel_hi:[1,0,1] neg_lo:[1,0,0] neg_hi:[1,0,0]
	v_pk_mul_f32 v[44:45], v[44:45], s[10:11] op_sel_hi:[1,0]
	v_pk_add_f32 v[46:47], v[46:47], v[48:49]
	v_pk_mul_f32 v[42:43], v[42:43], s[12:13] op_sel_hi:[1,0]
	v_pk_add_f32 v[48:49], v[18:19], v[52:53]
	v_pk_add_f32 v[18:19], v[20:21], v[22:23]
	v_pk_add_f32 v[20:21], v[38:39], v[40:41] op_sel:[0,1] op_sel_hi:[1,0] neg_lo:[0,1] neg_hi:[0,1]
	v_pk_add_f32 v[22:23], v[38:39], v[40:41] op_sel:[0,1] op_sel_hi:[1,0]
	v_pk_add_f32 v[38:39], v[16:17], v[44:45] op_sel:[0,1] op_sel_hi:[1,0]
	v_pk_add_f32 v[40:41], v[16:17], v[44:45] op_sel:[0,1] op_sel_hi:[1,0] neg_lo:[0,1] neg_hi:[0,1]
	v_pk_add_f32 v[16:17], v[18:19], v[12:13]
	v_pk_add_f32 v[12:13], v[22:23], v[54:55] op_sel:[0,1] op_sel_hi:[1,0]
	v_pk_add_f32 v[18:19], v[20:21], v[54:55] op_sel:[0,1] op_sel_hi:[1,0] neg_lo:[0,1] neg_hi:[0,1]
	v_pk_add_f32 v[22:23], v[40:41], v[42:43] op_sel:[0,1] op_sel_hi:[1,0]
	v_pk_add_f32 v[20:21], v[38:39], v[42:43] op_sel:[0,1] op_sel_hi:[1,0] neg_lo:[0,1] neg_hi:[0,1]
	v_mov_b32_e32 v38, v18
	v_mov_b32_e32 v39, v13
	;; [unrolled: 1-line block ×6, first 2 shown]
	v_pk_fma_f32 v[18:19], v[46:47], s[8:9], v[38:39] op_sel_hi:[1,0,1]
	v_pk_fma_f32 v[12:13], v[46:47], s[8:9], v[12:13] op_sel_hi:[1,0,1]
	;; [unrolled: 1-line block ×4, first 2 shown]
	ds_write2_b64 v62, v[16:17], v[18:19] offset1:1
	ds_write2_b64 v62, v[20:21], v[22:23] offset0:2 offset1:3
	ds_write_b64 v62, v[12:13] offset:32
	s_waitcnt lgkmcnt(0)
	s_barrier
	s_and_saveexec_b64 s[8:9], s[0:1]
	s_xor_b64 s[0:1], exec, s[8:9]
	s_andn2_saveexec_b64 s[0:1], s[0:1]
	s_cbranch_execz .LBB0_9
; %bb.8:
	ds_read2_b64 v[12:15], v60 offset0:20 offset1:25
	ds_read_b64 v[38:39], v60 offset:240
	ds_read2_b64 v[16:19], v60 offset1:5
	ds_read2_b64 v[20:23], v60 offset0:10 offset1:15
	s_waitcnt lgkmcnt(3)
	v_mov_b32_e32 v36, v15
	s_waitcnt lgkmcnt(2)
	v_mov_b32_e32 v37, v39
	v_mov_b32_e32 v15, v38
.LBB0_9:
	s_or_b64 exec, exec, s[0:1]
	s_and_saveexec_b64 s[0:1], vcc
	s_cbranch_execz .LBB0_11
; %bb.10:
	v_mov_b32_e32 v38, v9
	v_mov_b32_e32 v39, v8
	s_waitcnt lgkmcnt(0)
	v_pk_mul_f32 v[52:53], v[38:39], v[22:23]
	v_mov_b32_e32 v40, v11
	v_mov_b32_e32 v41, v10
	;; [unrolled: 1-line block ×4, first 2 shown]
	v_pk_mul_f32 v[8:9], v[8:9], v[22:23]
	v_pk_mul_f32 v[48:49], v[38:39], v[48:49]
	v_pk_fma_f32 v[22:23], v[38:39], v[22:23], v[52:53] neg_lo:[1,0,0] neg_hi:[1,0,0]
	v_pk_mul_f32 v[38:39], v[40:41], v[12:13]
	v_pk_mul_f32 v[44:45], v[6:7], v[14:15] op_sel:[0,1]
	v_mov_b32_e32 v38, v39
	v_pk_mul_f32 v[42:43], v[0:1], v[18:19] op_sel_hi:[1,0]
	v_pk_mul_f32 v[10:11], v[10:11], v[12:13]
	v_mov_b32_e32 v46, v13
	v_pk_fma_f32 v[12:13], v[40:41], v[12:13], v[38:39] neg_lo:[1,0,0] neg_hi:[1,0,0]
	v_pk_fma_f32 v[38:39], v[6:7], v[36:37], v[44:45] op_sel:[0,1,1] op_sel_hi:[1,1,0] neg_lo:[0,0,1] neg_hi:[0,0,1]
	v_pk_fma_f32 v[6:7], v[6:7], v[36:37], v[44:45] op_sel:[0,1,1] op_sel_hi:[1,1,0]
	v_pk_mul_f32 v[14:15], v[4:5], v[14:15] op_sel_hi:[1,0]
	v_mov_b32_e32 v39, v7
	v_pk_fma_f32 v[6:7], v[0:1], v[18:19], v[42:43] op_sel:[0,1,1] op_sel_hi:[1,1,0] neg_lo:[0,0,1] neg_hi:[0,0,1]
	v_pk_fma_f32 v[0:1], v[0:1], v[18:19], v[42:43] op_sel:[0,1,1] op_sel_hi:[1,1,0]
	v_pk_mul_f32 v[50:51], v[2:3], v[20:21] op_sel_hi:[1,0]
	v_mov_b32_e32 v7, v1
	v_pk_fma_f32 v[0:1], v[4:5], v[36:37], v[14:15] op_sel:[0,0,1] op_sel_hi:[1,1,0] neg_lo:[0,0,1] neg_hi:[0,0,1]
	v_pk_fma_f32 v[4:5], v[4:5], v[36:37], v[14:15] op_sel:[0,0,1] op_sel_hi:[1,0,0]
	v_pk_mul_f32 v[46:47], v[40:41], v[46:47]
	v_mov_b32_e32 v1, v5
	v_pk_fma_f32 v[4:5], v[2:3], v[20:21], v[50:51] op_sel:[0,1,1] op_sel_hi:[1,1,0] neg_lo:[0,0,1] neg_hi:[0,0,1]
	v_pk_fma_f32 v[2:3], v[2:3], v[20:21], v[50:51] op_sel:[0,1,1] op_sel_hi:[1,1,0]
	v_mov_b32_e32 v11, v38
	v_mov_b32_e32 v5, v3
	;; [unrolled: 1-line block ×5, first 2 shown]
	v_pk_add_f32 v[2:3], v[38:39], v[6:7]
	v_pk_add_f32 v[14:15], v[0:1], v[4:5]
	v_pk_add_f32 v[18:19], v[6:7], v[38:39] neg_lo:[0,1] neg_hi:[0,1]
	v_pk_add_f32 v[20:21], v[4:5], v[0:1] neg_lo:[0,1] neg_hi:[0,1]
	v_pk_add_f32 v[6:7], v[10:11], v[46:47]
	v_pk_add_f32 v[0:1], v[8:9], v[48:49]
	v_mov_b32_e32 v13, v6
	v_mov_b32_e32 v23, v0
	v_pk_add_f32 v[4:5], v[12:13], v[22:23] neg_lo:[0,1] neg_hi:[0,1]
	s_mov_b32 s8, 0xbeae86e6
	v_mov_b32_e32 v10, v4
	s_mov_b32 s9, 0x3f08b237
	v_pk_add_f32 v[36:37], v[4:5], v[20:21]
	v_mov_b32_e32 v38, v4
	v_mov_b32_e32 v39, v19
	;; [unrolled: 1-line block ×6, first 2 shown]
	v_pk_add_f32 v[4:5], v[38:39], v[4:5] neg_lo:[0,1] neg_hi:[0,1]
	s_mov_b32 s12, s9
	s_mov_b32 s13, s8
	v_mov_b32_e32 v38, v15
	v_mov_b32_e32 v39, v22
	;; [unrolled: 1-line block ×4, first 2 shown]
	v_pk_add_f32 v[8:9], v[8:9], v[10:11] neg_lo:[0,1] neg_hi:[0,1]
	v_pk_mul_f32 v[4:5], v[4:5], s[12:13]
	v_pk_add_f32 v[12:13], v[38:39], v[22:23]
	v_pk_add_f32 v[22:23], v[0:1], v[6:7]
	v_pk_mul_f32 v[10:11], v[8:9], s[8:9]
	v_pk_fma_f32 v[8:9], v[8:9], s[8:9], v[4:5]
	v_pk_add_f32 v[38:39], v[12:13], v[22:23]
	v_mov_b32_e32 v12, v3
	v_mov_b32_e32 v23, v1
	s_mov_b32 s8, 0x3f4a47b2
	v_pk_add_f32 v[40:41], v[12:13], v[22:23] neg_lo:[0,1] neg_hi:[0,1]
	s_mov_b32 s9, 0x3d64c772
	v_mov_b32_e32 v23, v7
	v_mov_b32_e32 v12, v15
	v_pk_add_f32 v[12:13], v[22:23], v[12:13] neg_lo:[0,1] neg_hi:[0,1]
	s_mov_b32 s12, s9
	s_mov_b32 s13, s8
	v_pk_mul_f32 v[12:13], v[12:13], s[12:13]
	v_pk_add_f32 v[16:17], v[16:17], v[38:39]
	v_pk_mul_f32 v[42:43], v[40:41], s[8:9]
	v_pk_fma_f32 v[22:23], v[40:41], s[8:9], v[12:13]
	s_mov_b32 s8, 0xbf955555
	v_mov_b32_e32 v0, v15
	v_mov_b32_e32 v6, v3
	v_pk_add_f32 v[36:37], v[36:37], v[18:19]
	v_pk_fma_f32 v[38:39], v[38:39], s[8:9], v[16:17] op_sel_hi:[1,0,1]
	v_pk_add_f32 v[18:19], v[20:21], v[18:19] neg_lo:[0,1] neg_hi:[0,1]
	s_mov_b32 s8, 0xbf5ff5aa
	v_mov_b32_e32 v20, v10
	v_mov_b32_e32 v21, v5
	v_pk_add_f32 v[0:1], v[0:1], v[6:7] neg_lo:[0,1] neg_hi:[0,1]
	s_mov_b32 s12, 0x3f3bfb3b
	v_mov_b32_e32 v2, v42
	v_mov_b32_e32 v3, v13
	v_mov_b32_e32 v5, v11
	v_mov_b32_e32 v13, v43
	s_mov_b32 s10, 0xbee1c552
	v_pk_fma_f32 v[20:21], v[18:19], s[8:9], v[20:21] op_sel_hi:[1,0,1] neg_lo:[1,0,1] neg_hi:[1,0,1]
	v_pk_fma_f32 v[2:3], v[0:1], s[12:13], v[2:3] op_sel_hi:[1,0,1] neg_lo:[1,0,1] neg_hi:[1,0,1]
	;; [unrolled: 1-line block ×4, first 2 shown]
	v_pk_fma_f32 v[8:9], v[36:37], s[10:11], v[8:9] op_sel_hi:[1,0,1]
	v_pk_add_f32 v[22:23], v[22:23], v[38:39]
	v_pk_fma_f32 v[20:21], v[36:37], s[10:11], v[20:21] op_sel_hi:[1,0,1]
	v_pk_add_f32 v[2:3], v[2:3], v[38:39]
	;; [unrolled: 2-line block ×3, first 2 shown]
	v_pk_add_f32 v[40:41], v[22:23], v[8:9]
	v_pk_add_f32 v[8:9], v[22:23], v[8:9] neg_lo:[0,1] neg_hi:[0,1]
	v_pk_add_f32 v[6:7], v[2:3], v[20:21]
	v_pk_add_f32 v[2:3], v[2:3], v[20:21] neg_lo:[0,1] neg_hi:[0,1]
	v_pk_add_f32 v[10:11], v[0:1], v[4:5] neg_lo:[0,1] neg_hi:[0,1]
	v_pk_add_f32 v[0:1], v[0:1], v[4:5]
	v_lshl_add_u32 v52, v25, 3, v61
	ds_write_b64 v60, v[16:17]
	v_mov_b32_e32 v16, v40
	v_mov_b32_e32 v17, v9
	;; [unrolled: 1-line block ×9, first 2 shown]
	ds_write2_b64 v52, v[16:17], v[14:15] offset0:5 offset1:10
	ds_write2_b64 v52, v[4:5], v[0:1] offset0:15 offset1:20
	;; [unrolled: 1-line block ×3, first 2 shown]
.LBB0_11:
	s_or_b64 exec, exec, s[0:1]
	s_waitcnt lgkmcnt(0)
	s_barrier
	ds_read2_b64 v[0:3], v60 offset1:7
	v_mad_u64_u32 v[6:7], s[0:1], s6, v24, 0
	v_mov_b32_e32 v8, v7
	v_mad_u64_u32 v[8:9], s[0:1], s7, v24, v[8:9]
	v_mov_b32_e32 v7, v8
	s_waitcnt lgkmcnt(0)
	v_mul_f32_e32 v8, v35, v1
	v_fmac_f32_e32 v8, v34, v0
	v_mul_f32_e32 v0, v35, v0
	s_mov_b32 s0, 0x1d41d41d
	v_fma_f32 v0, v34, v1, -v0
	v_cvt_f64_f32_e32 v[8:9], v8
	s_mov_b32 s1, 0x3f9d41d4
	v_cvt_f64_f32_e32 v[0:1], v0
	v_mul_f64 v[8:9], v[8:9], s[0:1]
	v_mul_f64 v[0:1], v[0:1], s[0:1]
	v_mov_b32_e32 v4, s2
	v_mov_b32_e32 v5, s3
	v_cvt_f32_f64_e32 v8, v[8:9]
	v_cvt_f32_f64_e32 v9, v[0:1]
	v_mad_u64_u32 v[0:1], s[2:3], s4, v25, 0
	v_mov_b32_e32 v10, v1
	v_mad_u64_u32 v[10:11], s[2:3], s5, v25, v[10:11]
	v_mov_b32_e32 v1, v10
	v_lshl_add_u64 v[4:5], v[6:7], 3, v[4:5]
	v_lshl_add_u64 v[0:1], v[0:1], 3, v[4:5]
	global_store_dwordx2 v[0:1], v[8:9], off
	ds_read2_b64 v[4:7], v60 offset0:14 offset1:21
	v_mul_f32_e32 v8, v33, v3
	v_fmac_f32_e32 v8, v32, v2
	v_mul_f32_e32 v2, v33, v2
	v_fma_f32 v2, v32, v3, -v2
	v_cvt_f64_f32_e32 v[8:9], v8
	v_cvt_f64_f32_e32 v[2:3], v2
	v_mul_f64 v[8:9], v[8:9], s[0:1]
	v_mul_f64 v[2:3], v[2:3], s[0:1]
	v_cvt_f32_f64_e32 v8, v[8:9]
	v_cvt_f32_f64_e32 v9, v[2:3]
	s_waitcnt lgkmcnt(0)
	v_mul_f32_e32 v2, v31, v5
	v_fmac_f32_e32 v2, v30, v4
	v_cvt_f64_f32_e32 v[2:3], v2
	v_mul_f64 v[2:3], v[2:3], s[0:1]
	v_cvt_f32_f64_e32 v2, v[2:3]
	v_mul_f32_e32 v3, v31, v4
	v_mad_u64_u32 v[0:1], s[2:3], s4, 56, v[0:1]
	s_mul_i32 s5, s5, 56
	v_fma_f32 v3, v30, v5, -v3
	v_add_u32_e32 v1, s5, v1
	v_cvt_f64_f32_e32 v[4:5], v3
	global_store_dwordx2 v[0:1], v[8:9], off
	v_mul_f64 v[4:5], v[4:5], s[0:1]
	v_mad_u64_u32 v[0:1], s[2:3], s4, 56, v[0:1]
	v_cvt_f32_f64_e32 v3, v[4:5]
	v_add_u32_e32 v1, s5, v1
	global_store_dwordx2 v[0:1], v[2:3], off
	v_mul_f32_e32 v2, v29, v7
	v_fmac_f32_e32 v2, v28, v6
	v_cvt_f64_f32_e32 v[2:3], v2
	v_mul_f64 v[2:3], v[2:3], s[0:1]
	v_cvt_f32_f64_e32 v2, v[2:3]
	v_mul_f32_e32 v3, v29, v6
	v_fma_f32 v3, v28, v7, -v3
	v_cvt_f64_f32_e32 v[4:5], v3
	v_mul_f64 v[4:5], v[4:5], s[0:1]
	v_cvt_f32_f64_e32 v3, v[4:5]
	ds_read_b64 v[4:5], v60 offset:224
	v_mad_u64_u32 v[0:1], s[2:3], s4, 56, v[0:1]
	v_add_u32_e32 v1, s5, v1
	global_store_dwordx2 v[0:1], v[2:3], off
	s_waitcnt lgkmcnt(0)
	v_mul_f32_e32 v2, v27, v5
	v_fmac_f32_e32 v2, v26, v4
	v_cvt_f64_f32_e32 v[2:3], v2
	v_mul_f64 v[2:3], v[2:3], s[0:1]
	v_cvt_f32_f64_e32 v2, v[2:3]
	v_mul_f32_e32 v3, v27, v4
	v_fma_f32 v3, v26, v5, -v3
	v_cvt_f64_f32_e32 v[4:5], v3
	v_mul_f64 v[4:5], v[4:5], s[0:1]
	v_mad_u64_u32 v[0:1], s[0:1], s4, 56, v[0:1]
	v_cvt_f32_f64_e32 v3, v[4:5]
	v_add_u32_e32 v1, s5, v1
	global_store_dwordx2 v[0:1], v[2:3], off
.LBB0_12:
	s_endpgm
	.section	.rodata,"a",@progbits
	.p2align	6, 0x0
	.amdhsa_kernel bluestein_single_fwd_len35_dim1_sp_op_CI_CI
		.amdhsa_group_segment_fixed_size 10080
		.amdhsa_private_segment_fixed_size 0
		.amdhsa_kernarg_size 104
		.amdhsa_user_sgpr_count 2
		.amdhsa_user_sgpr_dispatch_ptr 0
		.amdhsa_user_sgpr_queue_ptr 0
		.amdhsa_user_sgpr_kernarg_segment_ptr 1
		.amdhsa_user_sgpr_dispatch_id 0
		.amdhsa_user_sgpr_kernarg_preload_length 0
		.amdhsa_user_sgpr_kernarg_preload_offset 0
		.amdhsa_user_sgpr_private_segment_size 0
		.amdhsa_uses_dynamic_stack 0
		.amdhsa_enable_private_segment 0
		.amdhsa_system_sgpr_workgroup_id_x 1
		.amdhsa_system_sgpr_workgroup_id_y 0
		.amdhsa_system_sgpr_workgroup_id_z 0
		.amdhsa_system_sgpr_workgroup_info 0
		.amdhsa_system_vgpr_workitem_id 0
		.amdhsa_next_free_vgpr 70
		.amdhsa_next_free_sgpr 20
		.amdhsa_accum_offset 72
		.amdhsa_reserve_vcc 1
		.amdhsa_float_round_mode_32 0
		.amdhsa_float_round_mode_16_64 0
		.amdhsa_float_denorm_mode_32 3
		.amdhsa_float_denorm_mode_16_64 3
		.amdhsa_dx10_clamp 1
		.amdhsa_ieee_mode 1
		.amdhsa_fp16_overflow 0
		.amdhsa_tg_split 0
		.amdhsa_exception_fp_ieee_invalid_op 0
		.amdhsa_exception_fp_denorm_src 0
		.amdhsa_exception_fp_ieee_div_zero 0
		.amdhsa_exception_fp_ieee_overflow 0
		.amdhsa_exception_fp_ieee_underflow 0
		.amdhsa_exception_fp_ieee_inexact 0
		.amdhsa_exception_int_div_zero 0
	.end_amdhsa_kernel
	.text
.Lfunc_end0:
	.size	bluestein_single_fwd_len35_dim1_sp_op_CI_CI, .Lfunc_end0-bluestein_single_fwd_len35_dim1_sp_op_CI_CI
                                        ; -- End function
	.section	.AMDGPU.csdata,"",@progbits
; Kernel info:
; codeLenInByte = 4072
; NumSgprs: 26
; NumVgprs: 70
; NumAgprs: 0
; TotalNumVgprs: 70
; ScratchSize: 0
; MemoryBound: 0
; FloatMode: 240
; IeeeMode: 1
; LDSByteSize: 10080 bytes/workgroup (compile time only)
; SGPRBlocks: 3
; VGPRBlocks: 8
; NumSGPRsForWavesPerEU: 26
; NumVGPRsForWavesPerEU: 70
; AccumOffset: 72
; Occupancy: 7
; WaveLimiterHint : 1
; COMPUTE_PGM_RSRC2:SCRATCH_EN: 0
; COMPUTE_PGM_RSRC2:USER_SGPR: 2
; COMPUTE_PGM_RSRC2:TRAP_HANDLER: 0
; COMPUTE_PGM_RSRC2:TGID_X_EN: 1
; COMPUTE_PGM_RSRC2:TGID_Y_EN: 0
; COMPUTE_PGM_RSRC2:TGID_Z_EN: 0
; COMPUTE_PGM_RSRC2:TIDIG_COMP_CNT: 0
; COMPUTE_PGM_RSRC3_GFX90A:ACCUM_OFFSET: 17
; COMPUTE_PGM_RSRC3_GFX90A:TG_SPLIT: 0
	.text
	.p2alignl 6, 3212836864
	.fill 256, 4, 3212836864
	.type	__hip_cuid_f9cb0ae101be8525,@object ; @__hip_cuid_f9cb0ae101be8525
	.section	.bss,"aw",@nobits
	.globl	__hip_cuid_f9cb0ae101be8525
__hip_cuid_f9cb0ae101be8525:
	.byte	0                               ; 0x0
	.size	__hip_cuid_f9cb0ae101be8525, 1

	.ident	"AMD clang version 19.0.0git (https://github.com/RadeonOpenCompute/llvm-project roc-6.4.0 25133 c7fe45cf4b819c5991fe208aaa96edf142730f1d)"
	.section	".note.GNU-stack","",@progbits
	.addrsig
	.addrsig_sym __hip_cuid_f9cb0ae101be8525
	.amdgpu_metadata
---
amdhsa.kernels:
  - .agpr_count:     0
    .args:
      - .actual_access:  read_only
        .address_space:  global
        .offset:         0
        .size:           8
        .value_kind:     global_buffer
      - .actual_access:  read_only
        .address_space:  global
        .offset:         8
        .size:           8
        .value_kind:     global_buffer
      - .actual_access:  read_only
        .address_space:  global
        .offset:         16
        .size:           8
        .value_kind:     global_buffer
      - .actual_access:  read_only
        .address_space:  global
        .offset:         24
        .size:           8
        .value_kind:     global_buffer
      - .actual_access:  read_only
        .address_space:  global
        .offset:         32
        .size:           8
        .value_kind:     global_buffer
      - .offset:         40
        .size:           8
        .value_kind:     by_value
      - .address_space:  global
        .offset:         48
        .size:           8
        .value_kind:     global_buffer
      - .address_space:  global
        .offset:         56
        .size:           8
        .value_kind:     global_buffer
      - .address_space:  global
        .offset:         64
        .size:           8
        .value_kind:     global_buffer
      - .address_space:  global
        .offset:         72
        .size:           8
        .value_kind:     global_buffer
      - .offset:         80
        .size:           4
        .value_kind:     by_value
      - .address_space:  global
        .offset:         88
        .size:           8
        .value_kind:     global_buffer
      - .address_space:  global
        .offset:         96
        .size:           8
        .value_kind:     global_buffer
    .group_segment_fixed_size: 10080
    .kernarg_segment_align: 8
    .kernarg_segment_size: 104
    .language:       OpenCL C
    .language_version:
      - 2
      - 0
    .max_flat_workgroup_size: 252
    .name:           bluestein_single_fwd_len35_dim1_sp_op_CI_CI
    .private_segment_fixed_size: 0
    .sgpr_count:     26
    .sgpr_spill_count: 0
    .symbol:         bluestein_single_fwd_len35_dim1_sp_op_CI_CI.kd
    .uniform_work_group_size: 1
    .uses_dynamic_stack: false
    .vgpr_count:     70
    .vgpr_spill_count: 0
    .wavefront_size: 64
amdhsa.target:   amdgcn-amd-amdhsa--gfx950
amdhsa.version:
  - 1
  - 2
...

	.end_amdgpu_metadata
